;; amdgpu-corpus repo=ROCm/rocFFT kind=compiled arch=gfx1030 opt=O3
	.text
	.amdgcn_target "amdgcn-amd-amdhsa--gfx1030"
	.amdhsa_code_object_version 6
	.protected	fft_rtc_fwd_len810_factors_3_10_3_3_3_wgs_81_tpt_81_halfLds_half_ip_CI_unitstride_sbrr_R2C_dirReg ; -- Begin function fft_rtc_fwd_len810_factors_3_10_3_3_3_wgs_81_tpt_81_halfLds_half_ip_CI_unitstride_sbrr_R2C_dirReg
	.globl	fft_rtc_fwd_len810_factors_3_10_3_3_3_wgs_81_tpt_81_halfLds_half_ip_CI_unitstride_sbrr_R2C_dirReg
	.p2align	8
	.type	fft_rtc_fwd_len810_factors_3_10_3_3_3_wgs_81_tpt_81_halfLds_half_ip_CI_unitstride_sbrr_R2C_dirReg,@function
fft_rtc_fwd_len810_factors_3_10_3_3_3_wgs_81_tpt_81_halfLds_half_ip_CI_unitstride_sbrr_R2C_dirReg: ; @fft_rtc_fwd_len810_factors_3_10_3_3_3_wgs_81_tpt_81_halfLds_half_ip_CI_unitstride_sbrr_R2C_dirReg
; %bb.0:
	s_clause 0x2
	s_load_dwordx4 s[8:11], s[4:5], 0x0
	s_load_dwordx2 s[2:3], s[4:5], 0x50
	s_load_dwordx2 s[12:13], s[4:5], 0x18
	v_mul_u32_u24_e32 v1, 0x32a, v0
	v_mov_b32_e32 v3, 0
	v_add_nc_u32_sdwa v5, s6, v1 dst_sel:DWORD dst_unused:UNUSED_PAD src0_sel:DWORD src1_sel:WORD_1
	v_mov_b32_e32 v1, 0
	v_mov_b32_e32 v6, v3
	v_mov_b32_e32 v2, 0
	s_waitcnt lgkmcnt(0)
	v_cmp_lt_u64_e64 s0, s[10:11], 2
	s_and_b32 vcc_lo, exec_lo, s0
	s_cbranch_vccnz .LBB0_8
; %bb.1:
	s_load_dwordx2 s[0:1], s[4:5], 0x10
	v_mov_b32_e32 v1, 0
	s_add_u32 s6, s12, 8
	v_mov_b32_e32 v2, 0
	s_addc_u32 s7, s13, 0
	s_mov_b64 s[16:17], 1
	s_waitcnt lgkmcnt(0)
	s_add_u32 s14, s0, 8
	s_addc_u32 s15, s1, 0
.LBB0_2:                                ; =>This Inner Loop Header: Depth=1
	s_load_dwordx2 s[18:19], s[14:15], 0x0
                                        ; implicit-def: $vgpr8_vgpr9
	s_mov_b32 s0, exec_lo
	s_waitcnt lgkmcnt(0)
	v_or_b32_e32 v4, s19, v6
	v_cmpx_ne_u64_e32 0, v[3:4]
	s_xor_b32 s1, exec_lo, s0
	s_cbranch_execz .LBB0_4
; %bb.3:                                ;   in Loop: Header=BB0_2 Depth=1
	v_cvt_f32_u32_e32 v4, s18
	v_cvt_f32_u32_e32 v7, s19
	s_sub_u32 s0, 0, s18
	s_subb_u32 s20, 0, s19
	v_fmac_f32_e32 v4, 0x4f800000, v7
	v_rcp_f32_e32 v4, v4
	v_mul_f32_e32 v4, 0x5f7ffffc, v4
	v_mul_f32_e32 v7, 0x2f800000, v4
	v_trunc_f32_e32 v7, v7
	v_fmac_f32_e32 v4, 0xcf800000, v7
	v_cvt_u32_f32_e32 v7, v7
	v_cvt_u32_f32_e32 v4, v4
	v_mul_lo_u32 v8, s0, v7
	v_mul_hi_u32 v9, s0, v4
	v_mul_lo_u32 v10, s20, v4
	v_add_nc_u32_e32 v8, v9, v8
	v_mul_lo_u32 v9, s0, v4
	v_add_nc_u32_e32 v8, v8, v10
	v_mul_hi_u32 v10, v4, v9
	v_mul_lo_u32 v11, v4, v8
	v_mul_hi_u32 v12, v4, v8
	v_mul_hi_u32 v13, v7, v9
	v_mul_lo_u32 v9, v7, v9
	v_mul_hi_u32 v14, v7, v8
	v_mul_lo_u32 v8, v7, v8
	v_add_co_u32 v10, vcc_lo, v10, v11
	v_add_co_ci_u32_e32 v11, vcc_lo, 0, v12, vcc_lo
	v_add_co_u32 v9, vcc_lo, v10, v9
	v_add_co_ci_u32_e32 v9, vcc_lo, v11, v13, vcc_lo
	v_add_co_ci_u32_e32 v10, vcc_lo, 0, v14, vcc_lo
	v_add_co_u32 v8, vcc_lo, v9, v8
	v_add_co_ci_u32_e32 v9, vcc_lo, 0, v10, vcc_lo
	v_add_co_u32 v4, vcc_lo, v4, v8
	v_add_co_ci_u32_e32 v7, vcc_lo, v7, v9, vcc_lo
	v_mul_hi_u32 v8, s0, v4
	v_mul_lo_u32 v10, s20, v4
	v_mul_lo_u32 v9, s0, v7
	v_add_nc_u32_e32 v8, v8, v9
	v_mul_lo_u32 v9, s0, v4
	v_add_nc_u32_e32 v8, v8, v10
	v_mul_hi_u32 v10, v4, v9
	v_mul_lo_u32 v11, v4, v8
	v_mul_hi_u32 v12, v4, v8
	v_mul_hi_u32 v13, v7, v9
	v_mul_lo_u32 v9, v7, v9
	v_mul_hi_u32 v14, v7, v8
	v_mul_lo_u32 v8, v7, v8
	v_add_co_u32 v10, vcc_lo, v10, v11
	v_add_co_ci_u32_e32 v11, vcc_lo, 0, v12, vcc_lo
	v_add_co_u32 v9, vcc_lo, v10, v9
	v_add_co_ci_u32_e32 v9, vcc_lo, v11, v13, vcc_lo
	v_add_co_ci_u32_e32 v10, vcc_lo, 0, v14, vcc_lo
	v_add_co_u32 v8, vcc_lo, v9, v8
	v_add_co_ci_u32_e32 v9, vcc_lo, 0, v10, vcc_lo
	v_add_co_u32 v4, vcc_lo, v4, v8
	v_add_co_ci_u32_e32 v11, vcc_lo, v7, v9, vcc_lo
	v_mul_hi_u32 v13, v5, v4
	v_mad_u64_u32 v[9:10], null, v6, v4, 0
	v_mad_u64_u32 v[7:8], null, v5, v11, 0
	;; [unrolled: 1-line block ×3, first 2 shown]
	v_add_co_u32 v4, vcc_lo, v13, v7
	v_add_co_ci_u32_e32 v7, vcc_lo, 0, v8, vcc_lo
	v_add_co_u32 v4, vcc_lo, v4, v9
	v_add_co_ci_u32_e32 v4, vcc_lo, v7, v10, vcc_lo
	v_add_co_ci_u32_e32 v7, vcc_lo, 0, v12, vcc_lo
	v_add_co_u32 v4, vcc_lo, v4, v11
	v_add_co_ci_u32_e32 v9, vcc_lo, 0, v7, vcc_lo
	v_mul_lo_u32 v10, s19, v4
	v_mad_u64_u32 v[7:8], null, s18, v4, 0
	v_mul_lo_u32 v11, s18, v9
	v_sub_co_u32 v7, vcc_lo, v5, v7
	v_add3_u32 v8, v8, v11, v10
	v_sub_nc_u32_e32 v10, v6, v8
	v_subrev_co_ci_u32_e64 v10, s0, s19, v10, vcc_lo
	v_add_co_u32 v11, s0, v4, 2
	v_add_co_ci_u32_e64 v12, s0, 0, v9, s0
	v_sub_co_u32 v13, s0, v7, s18
	v_sub_co_ci_u32_e32 v8, vcc_lo, v6, v8, vcc_lo
	v_subrev_co_ci_u32_e64 v10, s0, 0, v10, s0
	v_cmp_le_u32_e32 vcc_lo, s18, v13
	v_cmp_eq_u32_e64 s0, s19, v8
	v_cndmask_b32_e64 v13, 0, -1, vcc_lo
	v_cmp_le_u32_e32 vcc_lo, s19, v10
	v_cndmask_b32_e64 v14, 0, -1, vcc_lo
	v_cmp_le_u32_e32 vcc_lo, s18, v7
	;; [unrolled: 2-line block ×3, first 2 shown]
	v_cndmask_b32_e64 v15, 0, -1, vcc_lo
	v_cmp_eq_u32_e32 vcc_lo, s19, v10
	v_cndmask_b32_e64 v7, v15, v7, s0
	v_cndmask_b32_e32 v10, v14, v13, vcc_lo
	v_add_co_u32 v13, vcc_lo, v4, 1
	v_add_co_ci_u32_e32 v14, vcc_lo, 0, v9, vcc_lo
	v_cmp_ne_u32_e32 vcc_lo, 0, v10
	v_cndmask_b32_e32 v8, v14, v12, vcc_lo
	v_cndmask_b32_e32 v10, v13, v11, vcc_lo
	v_cmp_ne_u32_e32 vcc_lo, 0, v7
	v_cndmask_b32_e32 v9, v9, v8, vcc_lo
	v_cndmask_b32_e32 v8, v4, v10, vcc_lo
.LBB0_4:                                ;   in Loop: Header=BB0_2 Depth=1
	s_andn2_saveexec_b32 s0, s1
	s_cbranch_execz .LBB0_6
; %bb.5:                                ;   in Loop: Header=BB0_2 Depth=1
	v_cvt_f32_u32_e32 v4, s18
	s_sub_i32 s1, 0, s18
	v_rcp_iflag_f32_e32 v4, v4
	v_mul_f32_e32 v4, 0x4f7ffffe, v4
	v_cvt_u32_f32_e32 v4, v4
	v_mul_lo_u32 v7, s1, v4
	v_mul_hi_u32 v7, v4, v7
	v_add_nc_u32_e32 v4, v4, v7
	v_mul_hi_u32 v4, v5, v4
	v_mul_lo_u32 v7, v4, s18
	v_add_nc_u32_e32 v8, 1, v4
	v_sub_nc_u32_e32 v7, v5, v7
	v_subrev_nc_u32_e32 v9, s18, v7
	v_cmp_le_u32_e32 vcc_lo, s18, v7
	v_cndmask_b32_e32 v7, v7, v9, vcc_lo
	v_cndmask_b32_e32 v4, v4, v8, vcc_lo
	v_mov_b32_e32 v9, v3
	v_cmp_le_u32_e32 vcc_lo, s18, v7
	v_add_nc_u32_e32 v8, 1, v4
	v_cndmask_b32_e32 v8, v4, v8, vcc_lo
.LBB0_6:                                ;   in Loop: Header=BB0_2 Depth=1
	s_or_b32 exec_lo, exec_lo, s0
	s_load_dwordx2 s[0:1], s[6:7], 0x0
	v_mul_lo_u32 v4, v9, s18
	v_mul_lo_u32 v7, v8, s19
	v_mad_u64_u32 v[10:11], null, v8, s18, 0
	s_add_u32 s16, s16, 1
	s_addc_u32 s17, s17, 0
	s_add_u32 s6, s6, 8
	s_addc_u32 s7, s7, 0
	;; [unrolled: 2-line block ×3, first 2 shown]
	v_add3_u32 v4, v11, v7, v4
	v_sub_co_u32 v5, vcc_lo, v5, v10
	v_sub_co_ci_u32_e32 v4, vcc_lo, v6, v4, vcc_lo
	s_waitcnt lgkmcnt(0)
	v_mul_lo_u32 v6, s1, v5
	v_mul_lo_u32 v4, s0, v4
	v_mad_u64_u32 v[1:2], null, s0, v5, v[1:2]
	v_cmp_ge_u64_e64 s0, s[16:17], s[10:11]
	s_and_b32 vcc_lo, exec_lo, s0
	v_add3_u32 v2, v6, v2, v4
	s_cbranch_vccnz .LBB0_9
; %bb.7:                                ;   in Loop: Header=BB0_2 Depth=1
	v_mov_b32_e32 v5, v8
	v_mov_b32_e32 v6, v9
	s_branch .LBB0_2
.LBB0_8:
	v_mov_b32_e32 v9, v6
	v_mov_b32_e32 v8, v5
.LBB0_9:
	s_lshl_b64 s[0:1], s[10:11], 3
	v_mul_hi_u32 v3, 0x3291620, v0
	s_add_u32 s0, s12, s0
	s_addc_u32 s1, s13, s1
	s_load_dwordx2 s[4:5], s[4:5], 0x20
	s_load_dwordx2 s[0:1], s[0:1], 0x0
	v_mul_u32_u24_e32 v3, 0x51, v3
	v_sub_nc_u32_e32 v0, v0, v3
	v_add_nc_u32_e32 v4, 0x51, v0
	v_add_nc_u32_e32 v7, 0xa2, v0
	;; [unrolled: 1-line block ×3, first 2 shown]
	s_waitcnt lgkmcnt(0)
	v_cmp_gt_u64_e32 vcc_lo, s[4:5], v[8:9]
	v_mul_lo_u32 v3, s0, v9
	v_mul_lo_u32 v5, s1, v8
	v_mad_u64_u32 v[1:2], null, s0, v8, v[1:2]
	v_cmp_le_u64_e64 s0, s[4:5], v[8:9]
	v_add3_u32 v2, v5, v2, v3
	s_and_saveexec_b32 s1, s0
	s_xor_b32 s0, exec_lo, s1
; %bb.10:
	v_add_nc_u32_e32 v4, 0x51, v0
	v_add_nc_u32_e32 v7, 0xa2, v0
	;; [unrolled: 1-line block ×3, first 2 shown]
; %bb.11:
	s_or_saveexec_b32 s1, s0
	v_lshlrev_b64 v[2:3], 2, v[1:2]
	v_lshl_add_u32 v16, v0, 2, 0
	s_xor_b32 exec_lo, exec_lo, s1
	s_cbranch_execz .LBB0_13
; %bb.12:
	v_mov_b32_e32 v1, 0
	v_add_nc_u32_e32 v18, 0x600, v16
	v_add_nc_u32_e32 v19, 0x800, v16
	v_lshlrev_b64 v[8:9], 2, v[0:1]
	v_add_co_u32 v1, s0, s2, v2
	v_add_co_ci_u32_e64 v5, s0, s3, v3, s0
	v_add_co_u32 v8, s0, v1, v8
	v_add_co_ci_u32_e64 v9, s0, v5, v9, s0
	v_add_co_u32 v10, s0, 0x800, v8
	v_add_co_ci_u32_e64 v11, s0, 0, v9, s0
	s_clause 0x9
	global_load_dword v1, v[8:9], off
	global_load_dword v5, v[8:9], off offset:324
	global_load_dword v12, v[8:9], off offset:648
	;; [unrolled: 1-line block ×9, first 2 shown]
	v_add_nc_u32_e32 v11, 0x400, v16
	s_waitcnt vmcnt(8)
	ds_write2_b32 v16, v1, v5 offset1:81
	s_waitcnt vmcnt(6)
	ds_write2_b32 v16, v12, v13 offset0:162 offset1:243
	s_waitcnt vmcnt(4)
	ds_write2_b32 v11, v14, v15 offset0:68 offset1:149
	;; [unrolled: 2-line block ×4, first 2 shown]
.LBB0_13:
	s_or_b32 exec_lo, exec_lo, s1
	v_add_nc_u32_e32 v19, 0x600, v16
	v_add_nc_u32_e32 v1, 0xa00, v16
	;; [unrolled: 1-line block ×4, first 2 shown]
	s_waitcnt lgkmcnt(0)
	s_barrier
	buffer_gl0_inv
	ds_read2_b32 v[8:9], v19 offset0:48 offset1:129
	ds_read2_b32 v[10:11], v1 offset0:62 offset1:143
	;; [unrolled: 1-line block ×3, first 2 shown]
	ds_read2_b32 v[23:24], v16 offset1:81
	ds_read2_b32 v[14:15], v22 offset0:14 offset1:95
	ds_read2_b32 v[17:18], v20 offset0:28 offset1:109
	v_lshl_add_u32 v21, v0, 3, v16
	v_mad_i32_i24 v5, v4, 12, 0
	v_mad_i32_i24 v1, v7, 12, 0
	v_cmp_gt_u32_e64 s0, 27, v0
	s_waitcnt lgkmcnt(0)
	s_barrier
	buffer_gl0_inv
	v_pk_add_f16 v27, v12, v8
	v_pk_add_f16 v25, v9, v11
	;; [unrolled: 1-line block ×4, first 2 shown]
	v_pk_add_f16 v14, v14, v17 neg_lo:[0,1] neg_hi:[0,1]
	v_pk_add_f16 v26, v9, v11 neg_lo:[0,1] neg_hi:[0,1]
	v_pk_add_f16 v28, v24, v15
	v_pk_add_f16 v31, v15, v18
	v_pk_add_f16 v32, v15, v18 neg_lo:[0,1] neg_hi:[0,1]
	v_pk_fma_f16 v15, v25, 0.5, v13 op_sel_hi:[1,0,1] neg_lo:[1,0,0] neg_hi:[1,0,0]
	v_pk_fma_f16 v23, v30, 0.5, v23 op_sel_hi:[1,0,1] neg_lo:[1,0,0] neg_hi:[1,0,0]
	v_pk_mul_f16 v25, 0x3aee, v14 op_sel_hi:[0,1]
	v_pk_add_f16 v33, v8, v10
	v_pk_add_f16 v8, v8, v10 neg_lo:[0,1] neg_hi:[0,1]
	v_pk_add_f16 v10, v27, v10
	v_pk_add_f16 v27, v28, v18
	v_pk_fma_f16 v14, 0x3aee, v26, v15 op_sel:[0,0,1] op_sel_hi:[0,1,0]
	v_pk_fma_f16 v18, 0x3aee, v26, v15 op_sel:[0,0,1] op_sel_hi:[0,1,0] neg_lo:[0,1,0] neg_hi:[0,1,0]
	v_pk_add_f16 v26, v23, v25 op_sel:[0,1] op_sel_hi:[1,0]
	v_pk_add_f16 v23, v23, v25 op_sel:[0,1] op_sel_hi:[1,0] neg_lo:[0,1] neg_hi:[0,1]
	v_pk_fma_f16 v24, v31, 0.5, v24 op_sel_hi:[1,0,1] neg_lo:[1,0,0] neg_hi:[1,0,0]
	v_pk_mul_f16 v25, 0x3aee, v32 op_sel_hi:[0,1]
	v_pk_fma_f16 v12, v33, 0.5, v12 op_sel_hi:[1,0,1] neg_lo:[1,0,0] neg_hi:[1,0,0]
	v_pk_mul_f16 v8, 0x3aee, v8 op_sel_hi:[0,1]
	v_bfi_b32 v28, 0xffff, v26, v23
	v_bfi_b32 v23, 0xffff, v23, v26
	v_pk_add_f16 v26, v24, v25 op_sel:[0,1] op_sel_hi:[1,0]
	v_pk_add_f16 v24, v24, v25 op_sel:[0,1] op_sel_hi:[1,0] neg_lo:[0,1] neg_hi:[0,1]
	v_pk_add_f16 v17, v29, v17
	v_pk_add_f16 v25, v12, v8 op_sel:[0,1] op_sel_hi:[1,0]
	v_pk_add_f16 v8, v12, v8 op_sel:[0,1] op_sel_hi:[1,0] neg_lo:[0,1] neg_hi:[0,1]
	v_lshrrev_b32_e32 v15, 16, v14
	v_bfi_b32 v12, 0xffff, v26, v24
	ds_write2_b32 v21, v17, v28 offset1:1
	ds_write_b32 v21, v23 offset:8
	v_bfi_b32 v17, 0xffff, v24, v26
	v_bfi_b32 v21, 0xffff, v25, v8
	;; [unrolled: 1-line block ×3, first 2 shown]
	ds_write2_b32 v5, v27, v12 offset1:1
	ds_write_b32 v5, v17 offset:8
	ds_write2_b32 v1, v10, v21 offset1:1
	ds_write_b32 v1, v8 offset:8
	s_and_saveexec_b32 s1, s0
	s_cbranch_execz .LBB0_15
; %bb.14:
	v_pk_add_f16 v8, v13, v9
	v_mad_i32_i24 v9, v6, 12, 0
	v_perm_b32 v10, v18, v15, 0x5040100
	v_pk_add_f16 v8, v8, v11
	v_alignbit_b32 v11, v14, v18, 16
	ds_write_b32 v9, v8
	ds_write2_b32 v9, v10, v11 offset0:1 offset1:2
.LBB0_15:
	s_or_b32 exec_lo, exec_lo, s1
	v_and_b32_e32 v26, 0xff, v0
	v_mov_b32_e32 v9, 9
	s_waitcnt lgkmcnt(0)
	s_barrier
	buffer_gl0_inv
	v_mul_lo_u16 v8, 0xab, v26
	v_lshlrev_b32_e32 v24, 3, v4
	v_lshlrev_b32_e32 v25, 3, v7
	v_lshl_add_u32 v17, v6, 2, 0
	v_mov_b32_e32 v43, 0x78
	v_lshrrev_b16 v21, 9, v8
	v_sub_nc_u32_e32 v38, v5, v24
	v_sub_nc_u32_e32 v39, v1, v25
	v_mov_b32_e32 v27, 2
	v_mul_lo_u16 v8, v21, 3
	v_mul_u32_u24_sdwa v21, v21, v43 dst_sel:DWORD dst_unused:UNUSED_PAD src0_sel:WORD_0 src1_sel:DWORD
	v_sub_nc_u16 v23, v0, v8
	v_mul_u32_u24_sdwa v8, v23, v9 dst_sel:DWORD dst_unused:UNUSED_PAD src0_sel:BYTE_0 src1_sel:DWORD
	v_lshlrev_b32_sdwa v23, v27, v23 dst_sel:DWORD dst_unused:UNUSED_PAD src0_sel:DWORD src1_sel:BYTE_0
	v_lshlrev_b32_e32 v12, 2, v8
	v_add3_u32 v53, 0, v21, v23
	s_clause 0x2
	global_load_dwordx4 v[8:11], v12, s[8:9]
	global_load_dwordx4 v[28:31], v12, s[8:9] offset:16
	global_load_dword v36, v12, s[8:9] offset:32
	ds_read_b32 v37, v16
	ds_read2_b32 v[12:13], v19 offset0:102 offset1:183
	ds_read2_b32 v[32:33], v20 offset0:136 offset1:217
	;; [unrolled: 1-line block ×3, first 2 shown]
	ds_read_b32 v40, v38
	ds_read_b32 v41, v39
	;; [unrolled: 1-line block ×3, first 2 shown]
	s_waitcnt vmcnt(0) lgkmcnt(0)
	s_barrier
	buffer_gl0_inv
	v_lshrrev_b32_e32 v48, 16, v34
	v_lshrrev_b32_e32 v50, 16, v40
	;; [unrolled: 1-line block ×10, first 2 shown]
	v_mul_f16_sdwa v21, v8, v50 dst_sel:DWORD dst_unused:UNUSED_PAD src0_sel:WORD_1 src1_sel:DWORD
	v_mul_f16_sdwa v23, v8, v40 dst_sel:DWORD dst_unused:UNUSED_PAD src0_sel:WORD_1 src1_sel:DWORD
	;; [unrolled: 1-line block ×8, first 2 shown]
	v_fma_f16 v21, v8, v40, -v21
	v_mul_f16_sdwa v40, v28, v49 dst_sel:DWORD dst_unused:UNUSED_PAD src0_sel:WORD_1 src1_sel:DWORD
	v_fmac_f16_e32 v23, v8, v50
	v_mul_f16_sdwa v8, v28, v35 dst_sel:DWORD dst_unused:UNUSED_PAD src0_sel:WORD_1 src1_sel:DWORD
	v_mul_f16_sdwa v50, v44, v29 dst_sel:DWORD dst_unused:UNUSED_PAD src0_sel:DWORD src1_sel:WORD_1
	v_fmac_f16_e32 v59, v11, v48
	v_mul_f16_sdwa v48, v46, v31 dst_sel:DWORD dst_unused:UNUSED_PAD src0_sel:DWORD src1_sel:WORD_1
	v_fma_f16 v41, v9, v41, -v54
	v_fmac_f16_e32 v55, v9, v51
	v_mul_f16_sdwa v9, v12, v29 dst_sel:DWORD dst_unused:UNUSED_PAD src0_sel:DWORD src1_sel:WORD_1
	v_fma_f16 v11, v11, v34, -v58
	v_mul_f16_sdwa v34, v32, v31 dst_sel:DWORD dst_unused:UNUSED_PAD src0_sel:DWORD src1_sel:WORD_1
	v_fma_f16 v42, v10, v42, -v56
	v_mul_f16_sdwa v51, v45, v30 dst_sel:DWORD dst_unused:UNUSED_PAD src0_sel:DWORD src1_sel:WORD_1
	v_fmac_f16_e32 v57, v10, v52
	v_mul_f16_sdwa v10, v13, v30 dst_sel:DWORD dst_unused:UNUSED_PAD src0_sel:DWORD src1_sel:WORD_1
	v_mul_f16_sdwa v52, v47, v36 dst_sel:DWORD dst_unused:UNUSED_PAD src0_sel:DWORD src1_sel:WORD_1
	v_fma_f16 v35, v28, v35, -v40
	v_fmac_f16_e32 v8, v28, v49
	v_fma_f16 v12, v12, v29, -v50
	v_fma_f16 v28, v32, v31, -v48
	v_mul_f16_sdwa v54, v33, v36 dst_sel:DWORD dst_unused:UNUSED_PAD src0_sel:DWORD src1_sel:WORD_1
	v_fmac_f16_e32 v9, v44, v29
	v_fmac_f16_e32 v34, v46, v31
	v_fma_f16 v13, v13, v30, -v51
	v_fmac_f16_e32 v10, v45, v30
	v_fma_f16 v29, v33, v36, -v52
	v_add_f16_e32 v31, v11, v12
	v_add_f16_e32 v44, v41, v28
	v_sub_f16_e32 v45, v11, v41
	v_sub_f16_e32 v46, v12, v28
	v_fmac_f16_e32 v54, v47, v36
	v_add_f16_e32 v30, v37, v41
	v_add_f16_e32 v47, v43, v55
	;; [unrolled: 1-line block ×3, first 2 shown]
	v_sub_f16_e32 v50, v55, v59
	v_sub_f16_e32 v51, v34, v9
	v_add_f16_e32 v52, v55, v34
	v_sub_f16_e32 v32, v55, v34
	v_sub_f16_e32 v55, v59, v55
	v_sub_f16_e32 v56, v9, v34
	v_fma_f16 v31, -0.5, v31, v37
	v_fmac_f16_e32 v37, -0.5, v44
	v_sub_f16_e32 v44, v42, v35
	v_add_f16_e32 v45, v45, v46
	v_sub_f16_e32 v46, v29, v13
	v_sub_f16_e32 v33, v59, v9
	;; [unrolled: 1-line block ×4, first 2 shown]
	v_add_f16_e32 v11, v30, v11
	v_add_f16_e32 v30, v35, v13
	;; [unrolled: 1-line block ×5, first 2 shown]
	v_sub_f16_e32 v51, v35, v42
	v_fma_f16 v48, -0.5, v48, v43
	v_fmac_f16_e32 v43, -0.5, v52
	v_sub_f16_e32 v52, v13, v29
	v_add_f16_e32 v55, v55, v56
	v_sub_f16_e32 v56, v57, v8
	v_add_f16_e32 v44, v44, v46
	v_sub_f16_e32 v46, v54, v10
	v_sub_f16_e32 v40, v28, v12
	v_add_f16_e32 v58, v21, v42
	v_fma_f16 v30, -0.5, v30, v21
	v_fmac_f16_e32 v21, -0.5, v59
	v_add_f16_e32 v59, v8, v10
	v_add_f16_e32 v51, v51, v52
	;; [unrolled: 1-line block ×6, first 2 shown]
	v_sub_f16_e32 v40, v57, v54
	v_sub_f16_e32 v57, v8, v57
	v_fma_f16 v59, -0.5, v59, v23
	v_fmac_f16_e32 v23, -0.5, v52
	v_sub_f16_e32 v52, v10, v54
	v_add_f16_e32 v56, v56, v8
	v_sub_f16_e32 v42, v42, v29
	v_add_f16_e32 v11, v11, v12
	v_fmamk_f16 v12, v32, 0x3b9c, v31
	v_fmac_f16_e32 v31, 0xbb9c, v32
	v_sub_f16_e32 v8, v8, v10
	v_add_f16_e32 v58, v58, v35
	v_sub_f16_e32 v35, v35, v13
	v_add_f16_e32 v52, v57, v52
	v_fmamk_f16 v57, v33, 0xbb9c, v37
	v_fmac_f16_e32 v37, 0x3b9c, v33
	v_add_f16_e32 v10, v56, v10
	v_fmamk_f16 v56, v40, 0x3b9c, v30
	v_fmac_f16_e32 v12, 0x38b4, v33
	v_fmac_f16_e32 v31, 0xb8b4, v33
	v_fmamk_f16 v33, v42, 0xbb9c, v59
	v_sub_f16_e32 v41, v41, v28
	v_add_f16_e32 v11, v11, v28
	v_fmamk_f16 v28, v8, 0xbb9c, v21
	v_fmac_f16_e32 v21, 0x3b9c, v8
	v_fmac_f16_e32 v57, 0x38b4, v32
	;; [unrolled: 1-line block ×3, first 2 shown]
	v_fmamk_f16 v32, v35, 0x3b9c, v23
	v_fmac_f16_e32 v23, 0xbb9c, v35
	v_fmac_f16_e32 v30, 0xbb9c, v40
	v_fmac_f16_e32 v59, 0x3b9c, v42
	v_add_f16_e32 v9, v47, v9
	v_fmac_f16_e32 v56, 0x38b4, v8
	v_fmac_f16_e32 v33, 0xb8b4, v35
	v_add_f16_e32 v13, v58, v13
	v_fmac_f16_e32 v28, 0x38b4, v40
	v_fmac_f16_e32 v21, 0xb8b4, v40
	;; [unrolled: 1-line block ×6, first 2 shown]
	v_fmamk_f16 v47, v41, 0xbb9c, v48
	v_add_f16_e32 v9, v9, v34
	v_add_f16_e32 v8, v10, v54
	v_fmac_f16_e32 v56, 0x34f2, v44
	v_fmac_f16_e32 v33, 0x34f2, v46
	v_fmamk_f16 v58, v49, 0x3b9c, v43
	v_fmac_f16_e32 v43, 0xbb9c, v49
	v_add_f16_e32 v13, v13, v29
	v_fmac_f16_e32 v28, 0x34f2, v51
	v_fmac_f16_e32 v21, 0x34f2, v51
	;; [unrolled: 1-line block ×10, first 2 shown]
	v_add_f16_e32 v29, v9, v8
	v_sub_f16_e32 v8, v9, v8
	v_mul_f16_e32 v9, 0x38b4, v33
	v_mul_f16_e32 v36, 0xb8b4, v56
	v_fmac_f16_e32 v58, 0xb8b4, v41
	v_fmac_f16_e32 v43, 0x38b4, v41
	v_add_f16_e32 v10, v11, v13
	v_sub_f16_e32 v11, v11, v13
	v_mul_f16_e32 v13, 0x3b9c, v32
	v_mul_f16_e32 v34, 0x34f2, v21
	;; [unrolled: 1-line block ×4, first 2 shown]
	v_fmac_f16_e32 v48, 0x38b4, v49
	v_mul_f16_e32 v35, 0x3a79, v30
	v_mul_f16_e32 v42, 0x3a79, v59
	v_fmac_f16_e32 v47, 0x34f2, v50
	v_fmac_f16_e32 v9, 0x3a79, v56
	;; [unrolled: 1-line block ×7, first 2 shown]
	v_pack_b32_f16 v8, v11, v8
	v_fmac_f16_e32 v13, 0x34f2, v28
	v_fma_f16 v11, v23, 0x3b9c, -v34
	v_fmac_f16_e32 v40, 0x34f2, v32
	v_fma_f16 v28, v21, 0xbb9c, -v41
	v_fmac_f16_e32 v48, 0x34f2, v50
	v_pack_b32_f16 v10, v10, v29
	v_fma_f16 v23, v59, 0x38b4, -v35
	v_fma_f16 v29, v30, 0xb8b4, -v42
	v_add_f16_e32 v30, v12, v9
	v_add_f16_e32 v35, v47, v36
	;; [unrolled: 1-line block ×8, first 2 shown]
	v_sub_f16_e32 v9, v12, v9
	v_sub_f16_e32 v12, v57, v13
	;; [unrolled: 1-line block ×8, first 2 shown]
	v_pack_b32_f16 v29, v30, v35
	v_pack_b32_f16 v30, v32, v41
	;; [unrolled: 1-line block ×8, first 2 shown]
	ds_write2_b32 v53, v10, v29 offset1:3
	ds_write2_b32 v53, v30, v32 offset0:6 offset1:9
	ds_write2_b32 v53, v33, v8 offset0:12 offset1:15
	;; [unrolled: 1-line block ×4, first 2 shown]
	s_waitcnt lgkmcnt(0)
	s_barrier
	buffer_gl0_inv
	ds_read2_b32 v[10:11], v22 offset0:14 offset1:95
	ds_read2_b32 v[8:9], v19 offset0:48 offset1:156
	ds_read_b32 v19, v38
	ds_read2_b32 v[12:13], v20 offset0:109 offset1:190
	ds_read_b32 v29, v16
	ds_read_b32 v28, v39
	v_lshrrev_b32_e32 v20, 16, v18
	s_and_saveexec_b32 s1, s0
	s_cbranch_execz .LBB0_17
; %bb.16:
	ds_read_b32 v21, v17
	ds_read_b32 v20, v16 offset:3132
	ds_read_b32 v15, v16 offset:2052
	s_waitcnt lgkmcnt(2)
	v_lshrrev_b32_e32 v23, 16, v21
	s_waitcnt lgkmcnt(1)
	v_lshrrev_b32_e32 v14, 16, v20
	;; [unrolled: 2-line block ×3, first 2 shown]
.LBB0_17:
	s_or_b32 exec_lo, exec_lo, s1
	v_mul_lo_u16 v22, 0x89, v26
	v_and_b32_e32 v30, 0xff, v4
	v_and_b32_e32 v26, 0xff, v7
	v_mov_b32_e32 v33, 0x8889
	v_mov_b32_e32 v32, 3
	v_lshrrev_b16 v22, 12, v22
	v_mul_lo_u16 v30, 0x89, v30
	v_mul_lo_u16 v34, 0x89, v26
	s_waitcnt lgkmcnt(5)
	v_lshrrev_b32_e32 v48, 16, v10
	s_waitcnt lgkmcnt(4)
	v_lshrrev_b32_e32 v49, 16, v9
	v_mul_lo_u16 v31, v22, 30
	v_lshrrev_b16 v41, 12, v30
	v_mul_u32_u24_sdwa v30, v6, v33 dst_sel:DWORD dst_unused:UNUSED_PAD src0_sel:WORD_0 src1_sel:DWORD
	v_lshrrev_b16 v43, 12, v34
	v_lshrrev_b32_e32 v50, 16, v11
	v_sub_nc_u16 v42, v0, v31
	v_mul_lo_u16 v31, v41, 30
	v_lshrrev_b32_e32 v30, 20, v30
	v_mul_lo_u16 v35, v43, 30
	s_waitcnt lgkmcnt(2)
	v_lshrrev_b32_e32 v51, 16, v12
	v_lshlrev_b32_sdwa v33, v32, v42 dst_sel:DWORD dst_unused:UNUSED_PAD src0_sel:DWORD src1_sel:BYTE_0
	v_sub_nc_u16 v44, v4, v31
	v_mul_lo_u16 v30, v30, 30
	v_sub_nc_u16 v45, v7, v35
	v_lshlrev_b32_sdwa v42, v27, v42 dst_sel:DWORD dst_unused:UNUSED_PAD src0_sel:DWORD src1_sel:BYTE_0
	global_load_dwordx2 v[33:34], v33, s[8:9] offset:108
	v_lshlrev_b32_sdwa v31, v32, v44 dst_sel:DWORD dst_unused:UNUSED_PAD src0_sel:DWORD src1_sel:BYTE_0
	v_sub_nc_u16 v30, v6, v30
	v_lshlrev_b32_sdwa v32, v32, v45 dst_sel:DWORD dst_unused:UNUSED_PAD src0_sel:DWORD src1_sel:BYTE_0
	v_lshrrev_b32_e32 v46, 16, v19
	s_waitcnt lgkmcnt(0)
	v_lshrrev_b32_e32 v47, 16, v28
	s_clause 0x1
	global_load_dwordx2 v[35:36], v31, s[8:9] offset:108
	global_load_dwordx2 v[37:38], v32, s[8:9] offset:108
	v_and_b32_e32 v32, 0xffff, v30
	v_lshlrev_b32_e32 v30, 3, v32
	global_load_dwordx2 v[39:40], v30, s[8:9] offset:108
	v_sub_nc_u32_e32 v30, 0, v25
	v_mov_b32_e32 v25, 0x168
	v_sub_nc_u32_e32 v31, 0, v24
	v_lshrrev_b32_e32 v24, 16, v29
	s_waitcnt vmcnt(0)
	s_barrier
	v_mul_u32_u24_sdwa v22, v22, v25 dst_sel:DWORD dst_unused:UNUSED_PAD src0_sel:WORD_0 src1_sel:DWORD
	v_mul_u32_u24_sdwa v41, v41, v25 dst_sel:DWORD dst_unused:UNUSED_PAD src0_sel:WORD_0 src1_sel:DWORD
	;; [unrolled: 1-line block ×3, first 2 shown]
	v_lshlrev_b32_sdwa v43, v27, v44 dst_sel:DWORD dst_unused:UNUSED_PAD src0_sel:DWORD src1_sel:BYTE_0
	v_lshlrev_b32_sdwa v27, v27, v45 dst_sel:DWORD dst_unused:UNUSED_PAD src0_sel:DWORD src1_sel:BYTE_0
	v_lshrrev_b32_e32 v44, 16, v8
	v_lshrrev_b32_e32 v45, 16, v13
	v_add3_u32 v42, 0, v22, v42
	v_add3_u32 v41, 0, v41, v43
	;; [unrolled: 1-line block ×3, first 2 shown]
	buffer_gl0_inv
	v_mul_f16_sdwa v22, v33, v48 dst_sel:DWORD dst_unused:UNUSED_PAD src0_sel:WORD_1 src1_sel:DWORD
	v_mul_f16_sdwa v25, v33, v10 dst_sel:DWORD dst_unused:UNUSED_PAD src0_sel:WORD_1 src1_sel:DWORD
	;; [unrolled: 1-line block ×4, first 2 shown]
	v_fma_f16 v10, v33, v10, -v22
	v_fmac_f16_e32 v25, v33, v48
	v_fma_f16 v9, v34, v9, -v43
	v_fmac_f16_e32 v52, v34, v49
	v_mul_f16_sdwa v22, v35, v50 dst_sel:DWORD dst_unused:UNUSED_PAD src0_sel:WORD_1 src1_sel:DWORD
	v_mul_f16_sdwa v33, v35, v11 dst_sel:DWORD dst_unused:UNUSED_PAD src0_sel:WORD_1 src1_sel:DWORD
	;; [unrolled: 1-line block ×8, first 2 shown]
	v_fma_f16 v11, v35, v11, -v22
	v_fmac_f16_e32 v33, v35, v50
	v_fma_f16 v12, v36, v12, -v34
	v_fmac_f16_e32 v43, v36, v51
	;; [unrolled: 2-line block ×4, first 2 shown]
	v_mul_f16_sdwa v22, v18, v39 dst_sel:DWORD dst_unused:UNUSED_PAD src0_sel:DWORD src1_sel:WORD_1
	v_mul_f16_sdwa v34, v15, v39 dst_sel:DWORD dst_unused:UNUSED_PAD src0_sel:DWORD src1_sel:WORD_1
	v_mul_f16_sdwa v35, v14, v40 dst_sel:DWORD dst_unused:UNUSED_PAD src0_sel:DWORD src1_sel:WORD_1
	v_mul_f16_sdwa v36, v20, v40 dst_sel:DWORD dst_unused:UNUSED_PAD src0_sel:DWORD src1_sel:WORD_1
	v_add_f16_e32 v37, v29, v10
	v_add_f16_e32 v38, v10, v9
	v_sub_f16_e32 v44, v25, v52
	v_add_f16_e32 v45, v24, v25
	v_add_f16_e32 v25, v25, v52
	v_sub_f16_e32 v10, v10, v9
	v_fma_f16 v15, v15, v39, -v22
	v_fmac_f16_e32 v34, v18, v39
	v_fma_f16 v18, v20, v40, -v35
	v_fmac_f16_e32 v36, v14, v40
	v_add_f16_e32 v9, v37, v9
	v_fmac_f16_e32 v29, -0.5, v38
	v_fmac_f16_e32 v24, -0.5, v25
	v_add_f16_e32 v20, v19, v11
	v_add_f16_e32 v22, v11, v12
	;; [unrolled: 1-line block ×5, first 2 shown]
	v_sub_f16_e32 v25, v33, v43
	v_add_f16_e32 v33, v33, v43
	v_add_f16_e32 v38, v8, v13
	;; [unrolled: 1-line block ×3, first 2 shown]
	v_sub_f16_e32 v11, v11, v12
	v_sub_f16_e32 v8, v8, v13
	v_fmamk_f16 v48, v44, 0x3aee, v29
	v_fmac_f16_e32 v29, 0xbaee, v44
	v_fmamk_f16 v44, v10, 0xbaee, v24
	v_fmac_f16_e32 v24, 0x3aee, v10
	v_add_f16_e32 v10, v20, v12
	v_fmac_f16_e32 v19, -0.5, v22
	v_add_f16_e32 v12, v35, v43
	v_add_f16_e32 v13, v37, v13
	;; [unrolled: 1-line block ×3, first 2 shown]
	v_sub_f16_e32 v35, v34, v36
	v_add_f16_e32 v37, v23, v34
	v_add_f16_e32 v34, v34, v36
	v_sub_f16_e32 v39, v49, v54
	v_add_f16_e32 v40, v47, v49
	v_fmac_f16_e32 v46, -0.5, v33
	v_fmac_f16_e32 v28, -0.5, v38
	;; [unrolled: 1-line block ×3, first 2 shown]
	v_add_f16_e32 v20, v21, v15
	v_sub_f16_e32 v15, v15, v18
	v_fmac_f16_e32 v21, -0.5, v22
	v_fmac_f16_e32 v23, -0.5, v34
	v_pack_b32_f16 v9, v9, v14
	v_fmamk_f16 v14, v25, 0x3aee, v19
	v_fmamk_f16 v38, v11, 0xbaee, v46
	v_fmac_f16_e32 v46, 0x3aee, v11
	v_fmamk_f16 v11, v39, 0x3aee, v28
	v_fmac_f16_e32 v28, 0xbaee, v39
	;; [unrolled: 2-line block ×3, first 2 shown]
	v_pack_b32_f16 v8, v48, v44
	v_fmac_f16_e32 v19, 0xbaee, v25
	v_add_f16_e32 v33, v40, v54
	v_add_f16_e32 v20, v20, v18
	v_add_f16_e32 v22, v37, v36
	v_pack_b32_f16 v18, v29, v24
	v_fmamk_f16 v24, v35, 0x3aee, v21
	v_fmac_f16_e32 v21, 0xbaee, v35
	v_fmamk_f16 v25, v15, 0xbaee, v23
	v_fmac_f16_e32 v23, 0x3aee, v15
	v_pack_b32_f16 v10, v10, v12
	ds_write2_b32 v42, v9, v8 offset1:30
	v_pack_b32_f16 v8, v14, v38
	v_pack_b32_f16 v9, v19, v46
	;; [unrolled: 1-line block ×5, first 2 shown]
	ds_write_b32 v42, v18 offset:240
	ds_write2_b32 v41, v10, v8 offset1:30
	ds_write_b32 v41, v9 offset:240
	ds_write2_b32 v27, v12, v11 offset1:30
	ds_write_b32 v27, v13 offset:240
	s_and_saveexec_b32 s1, s0
	s_cbranch_execz .LBB0_19
; %bb.18:
	v_lshl_add_u32 v8, v32, 2, 0
	v_perm_b32 v9, v22, v20, 0x5040100
	v_perm_b32 v10, v25, v24, 0x5040100
	;; [unrolled: 1-line block ×3, first 2 shown]
	v_add_nc_u32_e32 v11, 0x800, v8
	ds_write2_b32 v11, v9, v10 offset0:208 offset1:238
	ds_write_b32 v8, v12 offset:3120
.LBB0_19:
	s_or_b32 exec_lo, exec_lo, s1
	v_add_nc_u32_e32 v8, 0x400, v16
	v_add_nc_u32_e32 v9, 0x600, v16
	;; [unrolled: 1-line block ×5, first 2 shown]
	s_waitcnt lgkmcnt(0)
	s_barrier
	buffer_gl0_inv
	ds_read2_b32 v[10:11], v8 offset0:14 offset1:95
	ds_read2_b32 v[12:13], v9 offset0:48 offset1:156
	ds_read_b32 v27, v19
	ds_read2_b32 v[14:15], v5 offset0:109 offset1:190
	ds_read_b32 v1, v16
	ds_read_b32 v28, v18
	s_and_saveexec_b32 s1, s0
	s_cbranch_execz .LBB0_21
; %bb.20:
	ds_read_b32 v20, v17
	ds_read_b32 v21, v16 offset:3132
	ds_read_b32 v24, v16 offset:2052
	s_waitcnt lgkmcnt(2)
	v_lshrrev_b32_e32 v22, 16, v20
	s_waitcnt lgkmcnt(1)
	v_lshrrev_b32_e32 v23, 16, v21
	;; [unrolled: 2-line block ×3, first 2 shown]
.LBB0_21:
	s_or_b32 exec_lo, exec_lo, s1
	v_mul_lo_u16 v8, 0xb7, v26
	v_mov_b32_e32 v34, 0x2d83
	v_lshlrev_b32_e32 v29, 1, v0
	v_add_nc_u32_e32 v5, -9, v0
	v_mov_b32_e32 v30, 0
	v_lshrrev_b16 v37, 14, v8
	v_cmp_gt_u32_e64 s1, 9, v0
	v_mov_b32_e32 v33, 3
	v_mov_b32_e32 v45, 0x438
	v_lshlrev_b64 v[8:9], 2, v[29:30]
	v_mul_lo_u16 v26, 0x5a, v37
	v_cndmask_b32_e64 v5, v5, v4, s1
	v_mov_b32_e32 v46, 2
	s_waitcnt lgkmcnt(5)
	v_lshrrev_b32_e32 v42, 16, v10
	v_mul_u32_u24_sdwa v37, v37, v45 dst_sel:DWORD dst_unused:UNUSED_PAD src0_sel:WORD_0 src1_sel:DWORD
	v_sub_nc_u16 v38, v7, v26
	v_mul_u32_u24_sdwa v26, v6, v34 dst_sel:DWORD dst_unused:UNUSED_PAD src0_sel:WORD_0 src1_sel:DWORD
	v_lshlrev_b32_e32 v29, 1, v5
	v_add_co_u32 v8, s1, s8, v8
	v_add_co_ci_u32_e64 v9, s1, s9, v9, s1
	v_lshrrev_b32_e32 v26, 20, v26
	v_lshlrev_b64 v[29:30], 2, v[29:30]
	v_lshlrev_b32_sdwa v33, v33, v38 dst_sel:DWORD dst_unused:UNUSED_PAD src0_sel:DWORD src1_sel:BYTE_0
	global_load_dwordx2 v[31:32], v[8:9], off offset:348
	v_lshlrev_b32_e32 v5, 2, v5
	v_mul_lo_u16 v26, 0x5a, v26
	v_lshlrev_b32_sdwa v38, v46, v38 dst_sel:DWORD dst_unused:UNUSED_PAD src0_sel:DWORD src1_sel:BYTE_0
	v_add_co_u32 v29, s1, s8, v29
	v_add_co_ci_u32_e64 v30, s1, s9, v30, s1
	v_sub_nc_u16 v26, v6, v26
	global_load_dwordx2 v[33:34], v33, s[8:9] offset:348
	v_cmp_lt_u32_e64 s1, 8, v0
	global_load_dwordx2 v[29:30], v[29:30], off offset:348
	s_waitcnt lgkmcnt(4)
	v_lshrrev_b32_e32 v43, 16, v13
	v_and_b32_e32 v26, 0xffff, v26
	v_add3_u32 v37, 0, v37, v38
	v_cndmask_b32_e64 v47, 0, 0x438, s1
	s_waitcnt lgkmcnt(1)
	v_lshrrev_b32_e32 v39, 16, v1
	v_lshrrev_b32_e32 v44, 16, v11
	v_lshlrev_b32_e32 v35, 3, v26
	v_lshrrev_b32_e32 v45, 16, v14
	v_add3_u32 v47, 0, v47, v5
	v_lshrrev_b32_e32 v46, 16, v12
	v_lshrrev_b32_e32 v48, 16, v15
	global_load_dwordx2 v[35:36], v35, s[8:9] offset:348
	v_lshrrev_b32_e32 v40, 16, v27
	s_waitcnt lgkmcnt(0)
	v_lshrrev_b32_e32 v41, 16, v28
	s_waitcnt vmcnt(0)
	s_barrier
	buffer_gl0_inv
	v_mul_f16_sdwa v5, v31, v42 dst_sel:DWORD dst_unused:UNUSED_PAD src0_sel:WORD_1 src1_sel:DWORD
	v_mul_f16_sdwa v38, v31, v10 dst_sel:DWORD dst_unused:UNUSED_PAD src0_sel:WORD_1 src1_sel:DWORD
	;; [unrolled: 1-line block ×4, first 2 shown]
	v_fma_f16 v5, v31, v10, -v5
	v_fmac_f16_e32 v38, v31, v42
	v_fma_f16 v10, v32, v13, -v49
	v_fmac_f16_e32 v50, v32, v43
	v_mul_f16_sdwa v43, v33, v46 dst_sel:DWORD dst_unused:UNUSED_PAD src0_sel:WORD_1 src1_sel:DWORD
	v_mul_f16_sdwa v49, v33, v12 dst_sel:DWORD dst_unused:UNUSED_PAD src0_sel:WORD_1 src1_sel:DWORD
	;; [unrolled: 1-line block ×7, first 2 shown]
	v_add_f16_e32 v53, v1, v5
	v_add_f16_e32 v56, v39, v38
	v_mul_f16_sdwa v52, v34, v15 dst_sel:DWORD dst_unused:UNUSED_PAD src0_sel:WORD_1 src1_sel:DWORD
	v_add_f16_e32 v54, v5, v10
	v_sub_f16_e32 v55, v38, v50
	v_add_f16_e32 v38, v38, v50
	v_sub_f16_e32 v5, v5, v10
	v_fma_f16 v11, v29, v11, -v13
	v_fmac_f16_e32 v31, v29, v44
	v_fma_f16 v13, v30, v14, -v32
	v_fmac_f16_e32 v42, v30, v45
	;; [unrolled: 2-line block ×3, first 2 shown]
	v_fma_f16 v14, v34, v15, -v51
	v_add_f16_e32 v10, v53, v10
	v_add_f16_e32 v15, v56, v50
	v_mul_f16_sdwa v29, v25, v35 dst_sel:DWORD dst_unused:UNUSED_PAD src0_sel:DWORD src1_sel:WORD_1
	v_mul_f16_sdwa v30, v24, v35 dst_sel:DWORD dst_unused:UNUSED_PAD src0_sel:DWORD src1_sel:WORD_1
	;; [unrolled: 1-line block ×4, first 2 shown]
	v_fmac_f16_e32 v52, v34, v48
	v_fmac_f16_e32 v1, -0.5, v54
	v_fmac_f16_e32 v39, -0.5, v38
	v_sub_f16_e32 v44, v31, v42
	v_add_f16_e32 v45, v40, v31
	v_add_f16_e32 v31, v31, v42
	v_pack_b32_f16 v10, v10, v15
	v_fma_f16 v15, v24, v35, -v29
	v_fmac_f16_e32 v30, v25, v35
	v_fma_f16 v21, v21, v36, -v32
	v_fmac_f16_e32 v33, v23, v36
	v_add_f16_e32 v43, v11, v13
	v_add_f16_e32 v48, v12, v14
	v_sub_f16_e32 v50, v49, v52
	v_add_f16_e32 v51, v41, v49
	v_add_f16_e32 v49, v49, v52
	v_fmamk_f16 v34, v55, 0x3aee, v1
	v_fmac_f16_e32 v1, 0xbaee, v55
	v_fmamk_f16 v38, v5, 0xbaee, v39
	v_fmac_f16_e32 v39, 0x3aee, v5
	v_add_f16_e32 v5, v27, v11
	v_add_f16_e32 v46, v28, v12
	v_fmac_f16_e32 v40, -0.5, v31
	v_add_f16_e32 v29, v15, v21
	v_sub_f16_e32 v31, v30, v33
	v_add_f16_e32 v32, v22, v30
	v_add_f16_e32 v30, v30, v33
	v_sub_f16_e32 v11, v11, v13
	v_fmac_f16_e32 v27, -0.5, v43
	v_sub_f16_e32 v12, v12, v14
	v_fmac_f16_e32 v28, -0.5, v48
	v_fmac_f16_e32 v41, -0.5, v49
	v_add_f16_e32 v5, v5, v13
	v_add_f16_e32 v13, v45, v42
	;; [unrolled: 1-line block ×4, first 2 shown]
	v_pack_b32_f16 v24, v34, v38
	v_pack_b32_f16 v25, v1, v39
	v_add_f16_e32 v1, v20, v15
	v_sub_f16_e32 v15, v15, v21
	v_fmac_f16_e32 v20, -0.5, v29
	v_fmac_f16_e32 v22, -0.5, v30
	v_fmamk_f16 v34, v44, 0x3aee, v27
	v_fmamk_f16 v35, v11, 0xbaee, v40
	v_fmac_f16_e32 v27, 0xbaee, v44
	v_fmac_f16_e32 v40, 0x3aee, v11
	v_fmamk_f16 v11, v50, 0x3aee, v28
	v_fmamk_f16 v36, v12, 0xbaee, v41
	v_fmac_f16_e32 v28, 0xbaee, v50
	v_fmac_f16_e32 v41, 0x3aee, v12
	ds_write2_b32 v16, v10, v24 offset1:90
	v_pack_b32_f16 v10, v5, v13
	v_pack_b32_f16 v12, v14, v23
	v_add_f16_e32 v1, v1, v21
	v_add_f16_e32 v5, v32, v33
	v_fmamk_f16 v21, v31, 0x3aee, v20
	v_fmac_f16_e32 v20, 0xbaee, v31
	v_fmamk_f16 v23, v15, 0xbaee, v22
	v_fmac_f16_e32 v22, 0x3aee, v15
	v_pack_b32_f16 v13, v34, v35
	v_pack_b32_f16 v14, v27, v40
	;; [unrolled: 1-line block ×4, first 2 shown]
	ds_write_b32 v16, v25 offset:720
	ds_write2_b32 v47, v10, v13 offset1:90
	ds_write_b32 v47, v14 offset:720
	ds_write2_b32 v37, v12, v11 offset1:90
	ds_write_b32 v37, v24 offset:720
	s_and_saveexec_b32 s1, s0
	s_cbranch_execz .LBB0_23
; %bb.22:
	v_lshl_add_u32 v10, v26, 2, 0
	v_perm_b32 v11, v5, v1, 0x5040100
	v_perm_b32 v12, v23, v21, 0x5040100
	;; [unrolled: 1-line block ×3, first 2 shown]
	v_add_nc_u32_e32 v13, 0x800, v10
	ds_write2_b32 v13, v11, v12 offset0:28 offset1:118
	ds_write_b32 v10, v14 offset:2880
.LBB0_23:
	s_or_b32 exec_lo, exec_lo, s1
	v_add_nc_u32_e32 v10, 0x400, v16
	v_add_nc_u32_e32 v11, 0x600, v16
	v_add_nc_u32_e32 v12, 0x800, v16
	s_waitcnt lgkmcnt(0)
	s_barrier
	buffer_gl0_inv
	ds_read2_b32 v[14:15], v10 offset0:14 offset1:95
	ds_read2_b32 v[10:11], v11 offset0:48 offset1:156
	ds_read_b32 v25, v19
	ds_read2_b32 v[12:13], v12 offset0:109 offset1:190
	ds_read_b32 v26, v16
	ds_read_b32 v24, v18
	s_and_saveexec_b32 s1, s0
	s_cbranch_execz .LBB0_25
; %bb.24:
	ds_read_b32 v1, v17
	ds_read_b32 v20, v16 offset:3132
	ds_read_b32 v21, v16 offset:2052
	s_waitcnt lgkmcnt(2)
	v_lshrrev_b32_e32 v5, 16, v1
	s_waitcnt lgkmcnt(1)
	v_lshrrev_b32_e32 v22, 16, v20
	;; [unrolled: 2-line block ×3, first 2 shown]
.LBB0_25:
	s_or_b32 exec_lo, exec_lo, s1
	global_load_dwordx2 v[27:28], v[8:9], off offset:1068
	v_lshlrev_b32_e32 v8, 1, v4
	v_mov_b32_e32 v9, 0
	s_waitcnt lgkmcnt(5)
	v_lshrrev_b32_e32 v36, 16, v14
	s_waitcnt lgkmcnt(4)
	v_lshrrev_b32_e32 v38, 16, v11
	;; [unrolled: 2-line block ×3, first 2 shown]
	v_lshrrev_b32_e32 v40, 16, v15
	v_lshlrev_b64 v[29:30], 2, v[8:9]
	v_lshlrev_b32_e32 v8, 1, v7
	v_lshrrev_b32_e32 v35, 16, v13
	v_lshrrev_b32_e32 v37, 16, v10
	;; [unrolled: 1-line block ×3, first 2 shown]
	s_waitcnt lgkmcnt(0)
	v_lshrrev_b32_e32 v34, 16, v24
	v_lshlrev_b64 v[31:32], 2, v[8:9]
	v_add_co_u32 v29, s1, s8, v29
	v_add_co_ci_u32_e64 v30, s1, s9, v30, s1
	v_lshrrev_b32_e32 v8, 16, v26
	v_add_co_u32 v31, s1, s8, v31
	global_load_dwordx2 v[29:30], v[29:30], off offset:1068
	v_add_co_ci_u32_e64 v32, s1, s9, v32, s1
	global_load_dwordx2 v[31:32], v[31:32], off offset:1068
	s_waitcnt vmcnt(0)
	s_barrier
	buffer_gl0_inv
	v_mul_f16_sdwa v41, v27, v36 dst_sel:DWORD dst_unused:UNUSED_PAD src0_sel:WORD_1 src1_sel:DWORD
	v_mul_f16_sdwa v42, v27, v14 dst_sel:DWORD dst_unused:UNUSED_PAD src0_sel:WORD_1 src1_sel:DWORD
	;; [unrolled: 1-line block ×4, first 2 shown]
	v_fma_f16 v14, v27, v14, -v41
	v_fmac_f16_e32 v42, v27, v36
	v_fma_f16 v11, v28, v11, -v43
	v_fmac_f16_e32 v44, v28, v38
	v_add_f16_e32 v27, v26, v14
	v_add_f16_e32 v38, v8, v42
	;; [unrolled: 1-line block ×4, first 2 shown]
	v_sub_f16_e32 v36, v42, v44
	v_sub_f16_e32 v14, v14, v11
	v_add_f16_e32 v11, v27, v11
	v_fmac_f16_e32 v26, -0.5, v28
	v_add_f16_e32 v27, v38, v44
	v_fmac_f16_e32 v8, -0.5, v41
	v_mul_f16_sdwa v28, v29, v40 dst_sel:DWORD dst_unused:UNUSED_PAD src0_sel:WORD_1 src1_sel:DWORD
	v_mul_f16_sdwa v38, v29, v15 dst_sel:DWORD dst_unused:UNUSED_PAD src0_sel:WORD_1 src1_sel:DWORD
	v_mul_f16_sdwa v41, v30, v39 dst_sel:DWORD dst_unused:UNUSED_PAD src0_sel:WORD_1 src1_sel:DWORD
	v_mul_f16_sdwa v42, v30, v12 dst_sel:DWORD dst_unused:UNUSED_PAD src0_sel:WORD_1 src1_sel:DWORD
	v_fmamk_f16 v43, v36, 0x3aee, v26
	v_fmac_f16_e32 v26, 0xbaee, v36
	v_fmamk_f16 v36, v14, 0xbaee, v8
	v_fmac_f16_e32 v8, 0x3aee, v14
	v_pack_b32_f16 v11, v11, v27
	v_fma_f16 v14, v29, v15, -v28
	v_fmac_f16_e32 v38, v29, v40
	v_fma_f16 v12, v30, v12, -v41
	v_mul_f16_sdwa v15, v31, v37 dst_sel:DWORD dst_unused:UNUSED_PAD src0_sel:WORD_1 src1_sel:DWORD
	v_mul_f16_sdwa v27, v31, v10 dst_sel:DWORD dst_unused:UNUSED_PAD src0_sel:WORD_1 src1_sel:DWORD
	v_mul_f16_sdwa v28, v32, v35 dst_sel:DWORD dst_unused:UNUSED_PAD src0_sel:WORD_1 src1_sel:DWORD
	v_mul_f16_sdwa v29, v32, v13 dst_sel:DWORD dst_unused:UNUSED_PAD src0_sel:WORD_1 src1_sel:DWORD
	v_fmac_f16_e32 v42, v30, v39
	ds_write_b32 v16, v11
	v_pack_b32_f16 v11, v43, v36
	v_pack_b32_f16 v8, v26, v8
	v_fma_f16 v10, v31, v10, -v15
	v_fmac_f16_e32 v27, v31, v37
	v_fma_f16 v13, v32, v13, -v28
	v_fmac_f16_e32 v29, v32, v35
	v_add_f16_e32 v15, v25, v14
	v_add_f16_e32 v26, v14, v12
	;; [unrolled: 1-line block ×4, first 2 shown]
	ds_write_b32 v16, v11 offset:1080
	ds_write_b32 v16, v8 offset:2160
	v_add_f16_e32 v8, v15, v12
	v_fmac_f16_e32 v25, -0.5, v26
	v_add_f16_e32 v11, v30, v42
	v_add_f16_e32 v15, v10, v13
	v_sub_f16_e32 v26, v27, v29
	v_add_f16_e32 v30, v34, v27
	v_add_f16_e32 v27, v27, v29
	v_sub_f16_e32 v28, v38, v42
	v_sub_f16_e32 v14, v14, v12
	v_fmac_f16_e32 v33, -0.5, v31
	v_add_f16_e32 v12, v24, v10
	v_sub_f16_e32 v10, v10, v13
	v_fmac_f16_e32 v24, -0.5, v15
	v_fmac_f16_e32 v34, -0.5, v27
	v_fmamk_f16 v31, v28, 0x3aee, v25
	v_fmac_f16_e32 v25, 0xbaee, v28
	v_fmamk_f16 v28, v14, 0xbaee, v33
	v_pack_b32_f16 v8, v8, v11
	v_fmac_f16_e32 v33, 0x3aee, v14
	v_add_f16_e32 v12, v12, v13
	v_add_f16_e32 v13, v30, v29
	v_fmamk_f16 v11, v26, 0x3aee, v24
	v_fmamk_f16 v14, v10, 0xbaee, v34
	v_fmac_f16_e32 v24, 0xbaee, v26
	v_fmac_f16_e32 v34, 0x3aee, v10
	ds_write_b32 v19, v8
	v_pack_b32_f16 v8, v31, v28
	v_pack_b32_f16 v10, v25, v33
	;; [unrolled: 1-line block ×5, first 2 shown]
	ds_write_b32 v19, v8 offset:1080
	ds_write_b32 v19, v10 offset:2160
	ds_write_b32 v18, v12
	ds_write_b32 v18, v11 offset:1080
	ds_write_b32 v18, v13 offset:2160
	s_and_saveexec_b32 s1, s0
	s_cbranch_execz .LBB0_27
; %bb.26:
	v_subrev_nc_u32_e32 v8, 27, v0
	v_cndmask_b32_e64 v8, v8, v6, s0
	v_lshlrev_b32_e32 v8, 1, v8
	v_lshlrev_b64 v[8:9], 2, v[8:9]
	v_add_co_u32 v8, s0, s8, v8
	v_add_co_ci_u32_e64 v9, s0, s9, v9, s0
	global_load_dwordx2 v[8:9], v[8:9], off offset:1068
	s_waitcnt vmcnt(0)
	v_mul_f16_sdwa v10, v23, v8 dst_sel:DWORD dst_unused:UNUSED_PAD src0_sel:DWORD src1_sel:WORD_1
	v_mul_f16_sdwa v11, v21, v8 dst_sel:DWORD dst_unused:UNUSED_PAD src0_sel:DWORD src1_sel:WORD_1
	;; [unrolled: 1-line block ×4, first 2 shown]
	v_fma_f16 v10, v21, v8, -v10
	v_fmac_f16_e32 v11, v23, v8
	v_fmac_f16_e32 v12, v22, v9
	v_fma_f16 v8, v20, v9, -v13
	v_add_f16_e32 v15, v5, v11
	v_add_f16_e32 v9, v11, v12
	;; [unrolled: 1-line block ×3, first 2 shown]
	v_sub_f16_e32 v13, v10, v8
	v_add_f16_e32 v10, v1, v10
	v_fma_f16 v5, -0.5, v9, v5
	v_sub_f16_e32 v9, v11, v12
	v_fma_f16 v1, -0.5, v14, v1
	v_add_f16_e32 v11, v15, v12
	v_add_f16_e32 v8, v10, v8
	v_fmamk_f16 v10, v13, 0x3aee, v5
	v_fmac_f16_e32 v5, 0xbaee, v13
	v_fmamk_f16 v12, v9, 0xbaee, v1
	v_fmac_f16_e32 v1, 0x3aee, v9
	v_pack_b32_f16 v8, v8, v11
	v_pack_b32_f16 v1, v1, v5
	;; [unrolled: 1-line block ×3, first 2 shown]
	ds_write_b32 v16, v8 offset:972
	ds_write_b32 v16, v1 offset:2052
	;; [unrolled: 1-line block ×3, first 2 shown]
.LBB0_27:
	s_or_b32 exec_lo, exec_lo, s1
	s_waitcnt lgkmcnt(0)
	s_barrier
	buffer_gl0_inv
	ds_read_b32 v5, v16
	v_lshlrev_b32_e32 v1, 2, v0
	s_add_u32 s1, s8, 0xc9c
	s_addc_u32 s4, s9, 0
	s_mov_b32 s5, exec_lo
                                        ; implicit-def: $vgpr14
                                        ; implicit-def: $vgpr13
                                        ; implicit-def: $vgpr12
                                        ; implicit-def: $vgpr9_vgpr10
	v_sub_nc_u32_e32 v11, 0, v1
	v_cmpx_ne_u32_e32 0, v0
	s_xor_b32 s5, exec_lo, s5
	s_cbranch_execz .LBB0_29
; %bb.28:
	v_mov_b32_e32 v1, 0
	v_lshlrev_b64 v[8:9], 2, v[0:1]
	v_add_co_u32 v8, s0, s1, v8
	v_add_co_ci_u32_e64 v9, s0, s4, v9, s0
	global_load_dword v8, v[8:9], off
	ds_read_b32 v9, v11 offset:3240
	s_waitcnt lgkmcnt(0)
	v_pk_add_f16 v10, v5, v9 neg_lo:[0,1] neg_hi:[0,1]
	v_pk_add_f16 v5, v9, v5
	v_bfi_b32 v9, 0xffff, v10, v5
	v_bfi_b32 v5, 0xffff, v5, v10
	v_pk_mul_f16 v9, v9, 0.5 op_sel_hi:[1,0]
	v_pk_mul_f16 v12, v5, 0.5 op_sel_hi:[1,0]
	s_waitcnt vmcnt(0)
	v_pk_mul_f16 v10, v8, v9 op_sel:[1,0]
	v_pk_mul_f16 v8, v8, v9 op_sel_hi:[0,1]
	v_pk_fma_f16 v5, v5, 0.5, v10 op_sel_hi:[1,0,1]
	v_sub_f16_e32 v9, v12, v10
	v_sub_f16_sdwa v10, v10, v12 dst_sel:DWORD dst_unused:UNUSED_PAD src0_sel:WORD_1 src1_sel:WORD_1
	v_pk_add_f16 v14, v5, v8 op_sel:[0,1] op_sel_hi:[1,0]
	v_pk_add_f16 v5, v5, v8 op_sel:[0,1] op_sel_hi:[1,0] neg_lo:[0,1] neg_hi:[0,1]
	v_sub_f16_sdwa v13, v9, v8 dst_sel:DWORD dst_unused:UNUSED_PAD src0_sel:DWORD src1_sel:WORD_1
	v_sub_f16_e32 v12, v10, v8
	v_mov_b32_e32 v10, v1
	v_mov_b32_e32 v9, v0
	v_bfi_b32 v14, 0xffff, v14, v5
                                        ; implicit-def: $vgpr5
.LBB0_29:
	s_andn2_saveexec_b32 s0, s5
	s_cbranch_execz .LBB0_31
; %bb.30:
	v_mov_b32_e32 v12, 0
	s_waitcnt lgkmcnt(0)
	v_alignbit_b32 v8, s0, v5, 16
	v_mov_b32_e32 v9, 0
	v_sub_f16_sdwa v13, v5, v5 dst_sel:DWORD dst_unused:UNUSED_PAD src0_sel:DWORD src1_sel:WORD_1
	v_mov_b32_e32 v10, 0
	ds_read_u16 v1, v12 offset:1622
	v_pk_add_f16 v8, v8, v5
	v_pack_b32_f16 v14, v8, 0
	s_waitcnt lgkmcnt(0)
	v_xor_b32_e32 v1, 0x8000, v1
	ds_write_b16 v12, v1 offset:1622
.LBB0_31:
	s_or_b32 exec_lo, exec_lo, s0
	s_waitcnt lgkmcnt(0)
	v_mov_b32_e32 v5, 0
	v_lshlrev_b64 v[20:21], 2, v[4:5]
	v_mov_b32_e32 v8, v5
	v_lshlrev_b64 v[7:8], 2, v[7:8]
	v_add_co_u32 v20, s0, s1, v20
	v_add_co_ci_u32_e64 v21, s0, s4, v21, s0
	v_add_co_u32 v7, s0, s1, v7
	global_load_dword v1, v[20:21], off
	v_add_co_ci_u32_e64 v8, s0, s4, v8, s0
	global_load_dword v8, v[7:8], off
	v_mov_b32_e32 v7, v5
	v_lshlrev_b64 v[4:5], 2, v[6:7]
	v_add_co_u32 v4, s0, s1, v4
	v_add_co_ci_u32_e64 v5, s0, s4, v5, s0
	global_load_dword v15, v[4:5], off
	v_lshlrev_b64 v[4:5], 2, v[9:10]
	v_add_co_u32 v6, s0, s1, v4
	v_add_co_ci_u32_e64 v7, s0, s4, v5, s0
	global_load_dword v6, v[6:7], off offset:1296
	ds_write_b16 v11, v12 offset:3242
	ds_write_b32 v16, v14
	ds_write_b16 v11, v13 offset:3240
	ds_read_b32 v7, v19
	ds_read_b32 v9, v11 offset:2916
	s_waitcnt lgkmcnt(0)
	v_pk_add_f16 v10, v7, v9 neg_lo:[0,1] neg_hi:[0,1]
	v_pk_add_f16 v7, v7, v9
	v_bfi_b32 v9, 0xffff, v10, v7
	v_bfi_b32 v7, 0xffff, v7, v10
	v_pk_mul_f16 v9, v9, 0.5 op_sel_hi:[1,0]
	v_pk_mul_f16 v7, v7, 0.5 op_sel_hi:[1,0]
	s_waitcnt vmcnt(3)
	v_pk_fma_f16 v10, v1, v9, v7 op_sel:[1,0,0]
	v_pk_mul_f16 v12, v1, v9 op_sel_hi:[0,1]
	v_pk_fma_f16 v13, v1, v9, v7 op_sel:[1,0,0] neg_lo:[1,0,0] neg_hi:[1,0,0]
	v_pk_fma_f16 v1, v1, v9, v7 op_sel:[1,0,0] neg_lo:[0,0,1] neg_hi:[0,0,1]
	v_pk_add_f16 v7, v10, v12 op_sel:[0,1] op_sel_hi:[1,0]
	v_pk_add_f16 v9, v10, v12 op_sel:[0,1] op_sel_hi:[1,0] neg_lo:[0,1] neg_hi:[0,1]
	v_pk_add_f16 v10, v13, v12 op_sel:[0,1] op_sel_hi:[1,0] neg_lo:[0,1] neg_hi:[0,1]
	v_pk_add_f16 v1, v1, v12 op_sel:[0,1] op_sel_hi:[1,0] neg_lo:[0,1] neg_hi:[0,1]
	v_bfi_b32 v7, 0xffff, v7, v9
	v_bfi_b32 v1, 0xffff, v10, v1
	ds_write_b32 v19, v7
	ds_write_b32 v11, v1 offset:2916
	ds_read_b32 v1, v18
	ds_read_b32 v7, v11 offset:2592
	s_waitcnt lgkmcnt(0)
	v_pk_add_f16 v9, v1, v7 neg_lo:[0,1] neg_hi:[0,1]
	v_pk_add_f16 v1, v1, v7
	v_bfi_b32 v7, 0xffff, v9, v1
	v_bfi_b32 v1, 0xffff, v1, v9
	v_pk_mul_f16 v7, v7, 0.5 op_sel_hi:[1,0]
	v_pk_mul_f16 v1, v1, 0.5 op_sel_hi:[1,0]
	s_waitcnt vmcnt(2)
	v_pk_mul_f16 v10, v8, v7 op_sel_hi:[0,1]
	v_pk_fma_f16 v9, v8, v7, v1 op_sel:[1,0,0]
	v_pk_fma_f16 v12, v8, v7, v1 op_sel:[1,0,0] neg_lo:[1,0,0] neg_hi:[1,0,0]
	v_pk_fma_f16 v1, v8, v7, v1 op_sel:[1,0,0] neg_lo:[0,0,1] neg_hi:[0,0,1]
	v_pk_add_f16 v7, v9, v10 op_sel:[0,1] op_sel_hi:[1,0]
	v_pk_add_f16 v8, v9, v10 op_sel:[0,1] op_sel_hi:[1,0] neg_lo:[0,1] neg_hi:[0,1]
	v_pk_add_f16 v9, v12, v10 op_sel:[0,1] op_sel_hi:[1,0] neg_lo:[0,1] neg_hi:[0,1]
	;; [unrolled: 1-line block ×3, first 2 shown]
	v_bfi_b32 v7, 0xffff, v7, v8
	v_bfi_b32 v1, 0xffff, v9, v1
	ds_write_b32 v18, v7
	ds_write_b32 v11, v1 offset:2592
	ds_read_b32 v1, v17
	ds_read_b32 v7, v11 offset:2268
	s_waitcnt lgkmcnt(0)
	v_pk_add_f16 v8, v1, v7 neg_lo:[0,1] neg_hi:[0,1]
	v_pk_add_f16 v1, v1, v7
	v_bfi_b32 v7, 0xffff, v8, v1
	v_bfi_b32 v1, 0xffff, v1, v8
	v_pk_mul_f16 v7, v7, 0.5 op_sel_hi:[1,0]
	v_pk_mul_f16 v1, v1, 0.5 op_sel_hi:[1,0]
	s_waitcnt vmcnt(1)
	v_pk_mul_f16 v9, v15, v7 op_sel_hi:[0,1]
	v_pk_fma_f16 v8, v15, v7, v1 op_sel:[1,0,0]
	v_pk_fma_f16 v10, v15, v7, v1 op_sel:[1,0,0] neg_lo:[1,0,0] neg_hi:[1,0,0]
	v_pk_fma_f16 v1, v15, v7, v1 op_sel:[1,0,0] neg_lo:[0,0,1] neg_hi:[0,0,1]
	v_pk_add_f16 v7, v8, v9 op_sel:[0,1] op_sel_hi:[1,0]
	v_pk_add_f16 v8, v8, v9 op_sel:[0,1] op_sel_hi:[1,0] neg_lo:[0,1] neg_hi:[0,1]
	v_pk_add_f16 v10, v10, v9 op_sel:[0,1] op_sel_hi:[1,0] neg_lo:[0,1] neg_hi:[0,1]
	;; [unrolled: 1-line block ×3, first 2 shown]
	v_bfi_b32 v7, 0xffff, v7, v8
	v_bfi_b32 v1, 0xffff, v10, v1
	ds_write_b32 v17, v7
	ds_write_b32 v11, v1 offset:2268
	ds_read_b32 v1, v16 offset:1296
	ds_read_b32 v7, v11 offset:1944
	s_waitcnt lgkmcnt(0)
	v_pk_add_f16 v8, v1, v7 neg_lo:[0,1] neg_hi:[0,1]
	v_pk_add_f16 v1, v1, v7
	v_bfi_b32 v7, 0xffff, v8, v1
	v_bfi_b32 v1, 0xffff, v1, v8
	v_pk_mul_f16 v7, v7, 0.5 op_sel_hi:[1,0]
	v_pk_mul_f16 v1, v1, 0.5 op_sel_hi:[1,0]
	s_waitcnt vmcnt(0)
	v_pk_mul_f16 v9, v6, v7 op_sel_hi:[0,1]
	v_pk_fma_f16 v8, v6, v7, v1 op_sel:[1,0,0]
	v_pk_fma_f16 v10, v6, v7, v1 op_sel:[1,0,0] neg_lo:[1,0,0] neg_hi:[1,0,0]
	v_pk_fma_f16 v1, v6, v7, v1 op_sel:[1,0,0] neg_lo:[0,0,1] neg_hi:[0,0,1]
	v_pk_add_f16 v6, v8, v9 op_sel:[0,1] op_sel_hi:[1,0]
	v_pk_add_f16 v7, v8, v9 op_sel:[0,1] op_sel_hi:[1,0] neg_lo:[0,1] neg_hi:[0,1]
	v_pk_add_f16 v8, v10, v9 op_sel:[0,1] op_sel_hi:[1,0] neg_lo:[0,1] neg_hi:[0,1]
	;; [unrolled: 1-line block ×3, first 2 shown]
	v_bfi_b32 v6, 0xffff, v6, v7
	v_bfi_b32 v1, 0xffff, v8, v1
	ds_write_b32 v16, v6 offset:1296
	ds_write_b32 v11, v1 offset:1944
	s_waitcnt lgkmcnt(0)
	s_barrier
	buffer_gl0_inv
	s_and_saveexec_b32 s0, vcc_lo
	s_cbranch_execz .LBB0_34
; %bb.32:
	v_add_nc_u32_e32 v1, 0x400, v16
	v_add_nc_u32_e32 v14, 0x800, v16
	;; [unrolled: 1-line block ×3, first 2 shown]
	ds_read2_b32 v[6:7], v16 offset1:81
	ds_read2_b32 v[8:9], v16 offset0:162 offset1:243
	ds_read2_b32 v[10:11], v1 offset0:68 offset1:149
	;; [unrolled: 1-line block ×3, first 2 shown]
	v_add_co_u32 v1, vcc_lo, s2, v2
	ds_read2_b32 v[14:15], v14 offset0:136 offset1:217
	v_add_co_ci_u32_e32 v2, vcc_lo, s3, v3, vcc_lo
	v_add_co_u32 v3, vcc_lo, v1, v4
	v_add_co_ci_u32_e32 v4, vcc_lo, v2, v5, vcc_lo
	v_add_co_u32 v16, vcc_lo, 0x800, v3
	s_waitcnt lgkmcnt(4)
	global_store_dword v[3:4], v6, off
	global_store_dword v[3:4], v7, off offset:324
	s_waitcnt lgkmcnt(3)
	global_store_dword v[3:4], v8, off offset:648
	global_store_dword v[3:4], v9, off offset:972
	s_waitcnt lgkmcnt(2)
	global_store_dword v[3:4], v10, off offset:1296
	global_store_dword v[3:4], v11, off offset:1620
	v_add_co_ci_u32_e32 v17, vcc_lo, 0, v4, vcc_lo
	v_cmp_eq_u32_e32 vcc_lo, 0x50, v0
	s_waitcnt lgkmcnt(1)
	global_store_dword v[3:4], v12, off offset:1944
	global_store_dword v[16:17], v13, off offset:220
	s_waitcnt lgkmcnt(0)
	global_store_dword v[16:17], v14, off offset:544
	global_store_dword v[16:17], v15, off offset:868
	s_and_b32 exec_lo, exec_lo, vcc_lo
	s_cbranch_execz .LBB0_34
; %bb.33:
	v_mov_b32_e32 v0, 0
	ds_read_b32 v3, v0 offset:3240
	v_add_co_u32 v0, vcc_lo, 0x800, v1
	v_add_co_ci_u32_e32 v1, vcc_lo, 0, v2, vcc_lo
	s_waitcnt lgkmcnt(0)
	global_store_dword v[0:1], v3, off offset:1192
.LBB0_34:
	s_endpgm
	.section	.rodata,"a",@progbits
	.p2align	6, 0x0
	.amdhsa_kernel fft_rtc_fwd_len810_factors_3_10_3_3_3_wgs_81_tpt_81_halfLds_half_ip_CI_unitstride_sbrr_R2C_dirReg
		.amdhsa_group_segment_fixed_size 0
		.amdhsa_private_segment_fixed_size 0
		.amdhsa_kernarg_size 88
		.amdhsa_user_sgpr_count 6
		.amdhsa_user_sgpr_private_segment_buffer 1
		.amdhsa_user_sgpr_dispatch_ptr 0
		.amdhsa_user_sgpr_queue_ptr 0
		.amdhsa_user_sgpr_kernarg_segment_ptr 1
		.amdhsa_user_sgpr_dispatch_id 0
		.amdhsa_user_sgpr_flat_scratch_init 0
		.amdhsa_user_sgpr_private_segment_size 0
		.amdhsa_wavefront_size32 1
		.amdhsa_uses_dynamic_stack 0
		.amdhsa_system_sgpr_private_segment_wavefront_offset 0
		.amdhsa_system_sgpr_workgroup_id_x 1
		.amdhsa_system_sgpr_workgroup_id_y 0
		.amdhsa_system_sgpr_workgroup_id_z 0
		.amdhsa_system_sgpr_workgroup_info 0
		.amdhsa_system_vgpr_workitem_id 0
		.amdhsa_next_free_vgpr 60
		.amdhsa_next_free_sgpr 21
		.amdhsa_reserve_vcc 1
		.amdhsa_reserve_flat_scratch 0
		.amdhsa_float_round_mode_32 0
		.amdhsa_float_round_mode_16_64 0
		.amdhsa_float_denorm_mode_32 3
		.amdhsa_float_denorm_mode_16_64 3
		.amdhsa_dx10_clamp 1
		.amdhsa_ieee_mode 1
		.amdhsa_fp16_overflow 0
		.amdhsa_workgroup_processor_mode 1
		.amdhsa_memory_ordered 1
		.amdhsa_forward_progress 0
		.amdhsa_shared_vgpr_count 0
		.amdhsa_exception_fp_ieee_invalid_op 0
		.amdhsa_exception_fp_denorm_src 0
		.amdhsa_exception_fp_ieee_div_zero 0
		.amdhsa_exception_fp_ieee_overflow 0
		.amdhsa_exception_fp_ieee_underflow 0
		.amdhsa_exception_fp_ieee_inexact 0
		.amdhsa_exception_int_div_zero 0
	.end_amdhsa_kernel
	.text
.Lfunc_end0:
	.size	fft_rtc_fwd_len810_factors_3_10_3_3_3_wgs_81_tpt_81_halfLds_half_ip_CI_unitstride_sbrr_R2C_dirReg, .Lfunc_end0-fft_rtc_fwd_len810_factors_3_10_3_3_3_wgs_81_tpt_81_halfLds_half_ip_CI_unitstride_sbrr_R2C_dirReg
                                        ; -- End function
	.section	.AMDGPU.csdata,"",@progbits
; Kernel info:
; codeLenInByte = 8640
; NumSgprs: 23
; NumVgprs: 60
; ScratchSize: 0
; MemoryBound: 0
; FloatMode: 240
; IeeeMode: 1
; LDSByteSize: 0 bytes/workgroup (compile time only)
; SGPRBlocks: 2
; VGPRBlocks: 7
; NumSGPRsForWavesPerEU: 23
; NumVGPRsForWavesPerEU: 60
; Occupancy: 16
; WaveLimiterHint : 1
; COMPUTE_PGM_RSRC2:SCRATCH_EN: 0
; COMPUTE_PGM_RSRC2:USER_SGPR: 6
; COMPUTE_PGM_RSRC2:TRAP_HANDLER: 0
; COMPUTE_PGM_RSRC2:TGID_X_EN: 1
; COMPUTE_PGM_RSRC2:TGID_Y_EN: 0
; COMPUTE_PGM_RSRC2:TGID_Z_EN: 0
; COMPUTE_PGM_RSRC2:TIDIG_COMP_CNT: 0
	.text
	.p2alignl 6, 3214868480
	.fill 48, 4, 3214868480
	.type	__hip_cuid_5e6a1069bff1bf1d,@object ; @__hip_cuid_5e6a1069bff1bf1d
	.section	.bss,"aw",@nobits
	.globl	__hip_cuid_5e6a1069bff1bf1d
__hip_cuid_5e6a1069bff1bf1d:
	.byte	0                               ; 0x0
	.size	__hip_cuid_5e6a1069bff1bf1d, 1

	.ident	"AMD clang version 19.0.0git (https://github.com/RadeonOpenCompute/llvm-project roc-6.4.0 25133 c7fe45cf4b819c5991fe208aaa96edf142730f1d)"
	.section	".note.GNU-stack","",@progbits
	.addrsig
	.addrsig_sym __hip_cuid_5e6a1069bff1bf1d
	.amdgpu_metadata
---
amdhsa.kernels:
  - .args:
      - .actual_access:  read_only
        .address_space:  global
        .offset:         0
        .size:           8
        .value_kind:     global_buffer
      - .offset:         8
        .size:           8
        .value_kind:     by_value
      - .actual_access:  read_only
        .address_space:  global
        .offset:         16
        .size:           8
        .value_kind:     global_buffer
      - .actual_access:  read_only
        .address_space:  global
        .offset:         24
        .size:           8
        .value_kind:     global_buffer
      - .offset:         32
        .size:           8
        .value_kind:     by_value
      - .actual_access:  read_only
        .address_space:  global
        .offset:         40
        .size:           8
        .value_kind:     global_buffer
      - .actual_access:  read_only
        .address_space:  global
        .offset:         48
        .size:           8
        .value_kind:     global_buffer
      - .offset:         56
        .size:           4
        .value_kind:     by_value
      - .actual_access:  read_only
        .address_space:  global
        .offset:         64
        .size:           8
        .value_kind:     global_buffer
      - .actual_access:  read_only
        .address_space:  global
        .offset:         72
        .size:           8
        .value_kind:     global_buffer
      - .address_space:  global
        .offset:         80
        .size:           8
        .value_kind:     global_buffer
    .group_segment_fixed_size: 0
    .kernarg_segment_align: 8
    .kernarg_segment_size: 88
    .language:       OpenCL C
    .language_version:
      - 2
      - 0
    .max_flat_workgroup_size: 81
    .name:           fft_rtc_fwd_len810_factors_3_10_3_3_3_wgs_81_tpt_81_halfLds_half_ip_CI_unitstride_sbrr_R2C_dirReg
    .private_segment_fixed_size: 0
    .sgpr_count:     23
    .sgpr_spill_count: 0
    .symbol:         fft_rtc_fwd_len810_factors_3_10_3_3_3_wgs_81_tpt_81_halfLds_half_ip_CI_unitstride_sbrr_R2C_dirReg.kd
    .uniform_work_group_size: 1
    .uses_dynamic_stack: false
    .vgpr_count:     60
    .vgpr_spill_count: 0
    .wavefront_size: 32
    .workgroup_processor_mode: 1
amdhsa.target:   amdgcn-amd-amdhsa--gfx1030
amdhsa.version:
  - 1
  - 2
...

	.end_amdgpu_metadata
